;; amdgpu-corpus repo=ROCm/rocFFT kind=compiled arch=gfx906 opt=O3
	.text
	.amdgcn_target "amdgcn-amd-amdhsa--gfx906"
	.amdhsa_code_object_version 6
	.protected	fft_rtc_fwd_len100_factors_5_5_4_wgs_100_tpt_25_dp_op_CI_CI_sbrc_z_xy_unaligned ; -- Begin function fft_rtc_fwd_len100_factors_5_5_4_wgs_100_tpt_25_dp_op_CI_CI_sbrc_z_xy_unaligned
	.globl	fft_rtc_fwd_len100_factors_5_5_4_wgs_100_tpt_25_dp_op_CI_CI_sbrc_z_xy_unaligned
	.p2align	8
	.type	fft_rtc_fwd_len100_factors_5_5_4_wgs_100_tpt_25_dp_op_CI_CI_sbrc_z_xy_unaligned,@function
fft_rtc_fwd_len100_factors_5_5_4_wgs_100_tpt_25_dp_op_CI_CI_sbrc_z_xy_unaligned: ; @fft_rtc_fwd_len100_factors_5_5_4_wgs_100_tpt_25_dp_op_CI_CI_sbrc_z_xy_unaligned
; %bb.0:
	s_load_dwordx8 s[8:15], s[4:5], 0x8
	s_waitcnt lgkmcnt(0)
	s_load_dwordx4 s[0:3], s[10:11], 0x8
	s_load_dwordx4 s[16:19], s[12:13], 0x0
	s_nop 0
	s_load_dword s10, s[12:13], 0x10
	s_waitcnt lgkmcnt(0)
	s_add_i32 s1, s0, -1
	s_lshr_b32 s3, s1, 2
	s_add_i32 s7, s3, 1
	s_mul_i32 s2, s7, s2
	v_cvt_f32_u32_e32 v2, s2
	v_cvt_f32_u32_e32 v1, s7
	s_sub_i32 s1, 0, s2
	v_rcp_iflag_f32_e32 v2, v2
	v_rcp_iflag_f32_e32 v1, v1
	v_mul_f32_e32 v2, 0x4f7ffffe, v2
	v_cvt_u32_f32_e32 v2, v2
	v_mul_f32_e32 v1, 0x4f7ffffe, v1
	v_cvt_u32_f32_e32 v1, v1
	v_readfirstlane_b32 s19, v2
	s_mul_i32 s1, s1, s19
	s_mul_hi_u32 s1, s19, s1
	s_add_i32 s19, s19, s1
	s_mul_hi_u32 s1, s6, s19
	s_mul_i32 s19, s1, s2
	s_sub_i32 s19, s6, s19
	s_add_i32 s20, s1, 1
	s_sub_i32 s21, s19, s2
	s_cmp_ge_u32 s19, s2
	s_cselect_b32 s1, s20, s1
	s_cselect_b32 s19, s21, s19
	s_add_i32 s20, s1, 1
	s_cmp_ge_u32 s19, s2
	v_readfirstlane_b32 s11, v1
	s_cselect_b32 s1, s20, s1
	s_not_b32 s3, s3
	s_mul_i32 s3, s3, s11
	s_mul_i32 s2, s1, s2
	s_mul_hi_u32 s3, s11, s3
	s_sub_i32 s2, s6, s2
	s_add_i32 s11, s11, s3
	s_mul_hi_u32 s3, s2, s11
	s_mul_i32 s19, s3, s7
	s_sub_i32 s2, s2, s19
	s_add_i32 s20, s3, 1
	s_sub_i32 s19, s2, s7
	s_cmp_ge_u32 s2, s7
	s_cselect_b32 s3, s20, s3
	s_cselect_b32 s2, s19, s2
	s_add_i32 s19, s3, 1
	s_cmp_ge_u32 s2, s7
	s_mul_hi_u32 s2, s6, s11
	s_mul_i32 s2, s2, s7
	s_cselect_b32 s29, s19, s3
	s_sub_i32 s2, s6, s2
	s_sub_i32 s3, s2, s7
	s_cmp_ge_u32 s2, s7
	s_cselect_b32 s2, s3, s2
	s_sub_i32 s3, s2, s7
	s_cmp_ge_u32 s2, s7
	s_cselect_b32 s2, s3, s2
	s_lshl_b32 s28, s2, 2
	s_mul_i32 s3, s29, s10
	s_mul_i32 s2, s28, s18
	s_add_i32 s19, s2, s3
	s_lshl_b64 s[6:7], s[8:9], 3
	s_add_u32 s8, s12, s6
	s_addc_u32 s9, s13, s7
	s_load_dwordx2 s[10:11], s[8:9], 0x0
	s_load_dwordx2 s[20:21], s[4:5], 0x58
	;; [unrolled: 1-line block ×3, first 2 shown]
	v_mul_u32_u24_e32 v1, 0x290, v0
	v_lshrrev_b32_e32 v3, 16, v1
	s_waitcnt lgkmcnt(0)
	s_mul_i32 s3, s11, s1
	s_mul_hi_u32 s8, s10, s1
	s_add_i32 s8, s8, s3
	s_mul_i32 s3, s10, s1
	s_add_u32 s22, s3, s19
	s_addc_u32 s23, s8, 0
	s_add_u32 s12, s14, s6
	s_addc_u32 s13, s15, s7
	s_load_dwordx4 s[8:11], s[14:15], 0x0
	s_load_dwordx2 s[6:7], s[12:13], 0x0
	s_add_i32 s3, s28, 4
	s_cmp_le_u32 s3, s0
	s_cselect_b64 s[12:13], -1, 0
	v_mul_lo_u16_e32 v1, 0x64, v3
	v_sub_u16_e32 v4, v0, v1
	s_mov_b64 s[14:15], -1
	s_and_b64 vcc, exec, s[12:13]
	s_cbranch_vccnz .LBB0_5
; %bb.1:
	v_add_u32_e32 v5, s28, v3
	v_cmp_gt_u32_e32 vcc, s0, v5
	s_and_saveexec_b64 s[14:15], vcc
	s_cbranch_execz .LBB0_4
; %bb.2:
	v_mad_u64_u32 v[1:2], s[24:25], s16, v4, 0
	s_lshl_b64 s[24:25], s[22:23], 4
	s_add_u32 s3, s20, s24
	v_mad_u64_u32 v[6:7], s[26:27], s17, v4, v[2:3]
	s_waitcnt lgkmcnt(0)
	s_addc_u32 s11, s21, s25
	v_mov_b32_e32 v7, s11
	v_mov_b32_e32 v2, v6
	v_lshlrev_b64 v[1:2], 4, v[1:2]
	v_lshlrev_b32_e32 v8, 4, v4
	v_add_co_u32_e32 v6, vcc, s3, v1
	v_mul_lo_u32 v1, v3, s18
	v_addc_co_u32_e32 v7, vcc, v7, v2, vcc
	v_mul_u32_u24_e32 v2, 0x640, v3
	v_add3_u32 v8, v2, v8, 0
	s_mov_b64 s[24:25], 0
	v_mov_b32_e32 v2, 0
.LBB0_3:                                ; =>This Inner Loop Header: Depth=1
	v_lshlrev_b64 v[9:10], 4, v[1:2]
	v_add_u32_e32 v5, 1, v5
	v_add_co_u32_e32 v9, vcc, v6, v9
	v_addc_co_u32_e32 v10, vcc, v7, v10, vcc
	global_load_dwordx4 v[9:12], v[9:10], off
	v_cmp_le_u32_e32 vcc, s0, v5
	v_add_u32_e32 v1, s18, v1
	s_or_b64 s[24:25], vcc, s[24:25]
	s_waitcnt vmcnt(0)
	ds_write_b128 v8, v[9:12]
	v_add_u32_e32 v8, 0x640, v8
	s_andn2_b64 exec, exec, s[24:25]
	s_cbranch_execnz .LBB0_3
.LBB0_4:
	s_or_b64 exec, exec, s[14:15]
	s_mov_b64 s[14:15], 0
.LBB0_5:
	s_andn2_b64 vcc, exec, s[14:15]
	s_cbranch_vccnz .LBB0_7
; %bb.6:
	v_mad_u64_u32 v[1:2], s[14:15], s16, v4, 0
	v_mul_lo_u32 v13, s18, v3
	v_mov_b32_e32 v14, 0
	v_mad_u64_u32 v[5:6], s[14:15], s17, v4, v[2:3]
	s_lshl_b64 s[14:15], s[22:23], 4
	s_add_u32 s3, s20, s14
	v_mov_b32_e32 v2, v5
	v_lshlrev_b64 v[1:2], 4, v[1:2]
	s_waitcnt lgkmcnt(0)
	s_addc_u32 s11, s21, s15
	v_mov_b32_e32 v5, s11
	v_add_co_u32_e32 v17, vcc, s3, v1
	v_addc_co_u32_e32 v18, vcc, v5, v2, vcc
	v_lshlrev_b64 v[1:2], 4, v[13:14]
	v_add_u32_e32 v13, s18, v13
	v_add_co_u32_e32 v1, vcc, v17, v1
	v_lshlrev_b64 v[5:6], 4, v[13:14]
	v_addc_co_u32_e32 v2, vcc, v18, v2, vcc
	v_add_co_u32_e32 v15, vcc, v17, v5
	v_add_u32_e32 v13, s18, v13
	v_addc_co_u32_e32 v16, vcc, v18, v6, vcc
	global_load_dwordx4 v[5:8], v[1:2], off
	global_load_dwordx4 v[9:12], v[15:16], off
	v_lshlrev_b64 v[1:2], 4, v[13:14]
	v_add_u32_e32 v13, s18, v13
	v_add_co_u32_e32 v1, vcc, v17, v1
	v_lshlrev_b64 v[13:14], 4, v[13:14]
	v_addc_co_u32_e32 v2, vcc, v18, v2, vcc
	v_add_co_u32_e32 v21, vcc, v17, v13
	v_addc_co_u32_e32 v22, vcc, v18, v14, vcc
	global_load_dwordx4 v[13:16], v[1:2], off
	global_load_dwordx4 v[17:20], v[21:22], off
	v_mul_u32_u24_e32 v1, 0x640, v3
	v_lshlrev_b32_e32 v2, 4, v4
	v_add3_u32 v1, 0, v1, v2
	s_waitcnt vmcnt(3)
	ds_write_b128 v1, v[5:8]
	s_waitcnt vmcnt(2)
	ds_write_b128 v1, v[9:12] offset:1600
	s_waitcnt vmcnt(1)
	ds_write_b128 v1, v[13:16] offset:3200
	;; [unrolled: 2-line block ×3, first 2 shown]
.LBB0_7:
	s_movk_i32 s3, 0xa3e
	v_mul_u32_u24_sdwa v1, v0, s3 dst_sel:DWORD dst_unused:UNUSED_PAD src0_sel:WORD_0 src1_sel:DWORD
	s_mov_b32 s3, 0xa3d70a4
	v_mul_hi_u32 v2, v0, s3
	v_mov_b32_e32 v3, 3
	v_and_b32_sdwa v1, v1, v3 dst_sel:DWORD dst_unused:UNUSED_PAD src0_sel:WORD_1 src1_sel:DWORD
	v_mul_lo_u16_e32 v1, 0x64, v1
	v_mul_u32_u24_e32 v2, 25, v2
	v_sub_u32_e32 v23, v0, v2
	v_lshlrev_b32_e32 v24, 4, v1
	v_lshlrev_b32_e32 v1, 4, v23
	v_add3_u32 v22, 0, v24, v1
	v_add_u32_e32 v25, 0, v1
	s_waitcnt lgkmcnt(0)
	s_barrier
	v_add_u32_e32 v21, v25, v24
	ds_read_b128 v[5:8], v22
	ds_read_b128 v[9:12], v21 offset:320
	ds_read_b128 v[1:4], v21 offset:640
	ds_read_b128 v[13:16], v21 offset:960
	s_mov_b32 s14, 0x134454ff
	s_mov_b32 s15, 0x3fee6f0e
	;; [unrolled: 1-line block ×3, first 2 shown]
	s_waitcnt lgkmcnt(2)
	v_add_f64 v[17:18], v[5:6], v[9:10]
	v_add_f64 v[19:20], v[7:8], v[11:12]
	s_waitcnt lgkmcnt(0)
	v_add_f64 v[30:31], v[1:2], v[13:14]
	v_add_f64 v[32:33], v[3:4], -v[15:16]
	v_add_f64 v[34:35], v[9:10], -v[1:2]
	;; [unrolled: 1-line block ×3, first 2 shown]
	v_add_f64 v[38:39], v[3:4], v[15:16]
	v_add_f64 v[40:41], v[1:2], -v[13:14]
	v_add_f64 v[26:27], v[17:18], v[1:2]
	v_add_f64 v[28:29], v[19:20], v[3:4]
	ds_read_b128 v[17:20], v21 offset:1280
	v_add_f64 v[42:43], v[11:12], -v[3:4]
	v_add_f64 v[44:45], v[3:4], -v[11:12]
	v_fma_f64 v[30:31], v[30:31], -0.5, v[5:6]
	s_mov_b32 s16, s14
	s_waitcnt lgkmcnt(0)
	v_add_f64 v[46:47], v[11:12], -v[19:20]
	v_add_f64 v[26:27], v[26:27], v[13:14]
	v_add_f64 v[28:29], v[28:29], v[15:16]
	;; [unrolled: 1-line block ×4, first 2 shown]
	v_add_f64 v[9:10], v[9:10], -v[17:18]
	s_mov_b32 s18, 0x4755a5e
	s_mov_b32 s19, 0x3fe2cf23
	;; [unrolled: 1-line block ×3, first 2 shown]
	v_add_f64 v[1:2], v[26:27], v[17:18]
	v_add_f64 v[3:4], v[28:29], v[19:20]
	v_add_f64 v[26:27], v[17:18], -v[13:14]
	v_add_f64 v[28:29], v[19:20], -v[15:16]
	;; [unrolled: 1-line block ×4, first 2 shown]
	v_fma_f64 v[5:6], v[48:49], -0.5, v[5:6]
	v_fma_f64 v[17:18], v[38:39], -0.5, v[7:8]
	;; [unrolled: 1-line block ×3, first 2 shown]
	v_fma_f64 v[11:12], v[46:47], s[14:15], v[30:31]
	v_add_f64 v[19:20], v[34:35], v[26:27]
	v_add_f64 v[26:27], v[42:43], v[28:29]
	v_fma_f64 v[28:29], v[46:47], s[16:17], v[30:31]
	s_mov_b32 s20, s18
	v_fma_f64 v[34:35], v[32:33], s[16:17], v[5:6]
	v_fma_f64 v[30:31], v[9:10], s[16:17], v[17:18]
	;; [unrolled: 1-line block ×5, first 2 shown]
	v_add_f64 v[13:14], v[36:37], v[13:14]
	v_fma_f64 v[28:29], v[32:33], s[20:21], v[28:29]
	v_fma_f64 v[32:33], v[40:41], s[14:15], v[7:8]
	;; [unrolled: 1-line block ×7, first 2 shown]
	v_add_f64 v[15:16], v[44:45], v[15:16]
	s_mov_b32 s14, 0x372fe950
	v_fma_f64 v[32:33], v[9:10], s[20:21], v[32:33]
	v_fma_f64 v[40:41], v[9:10], s[18:19], v[7:8]
	s_mov_b32 s15, 0x3fd3c6ef
	v_fma_f64 v[5:6], v[19:20], s[14:15], v[11:12]
	v_fma_f64 v[7:8], v[26:27], s[14:15], v[30:31]
	;; [unrolled: 1-line block ×8, first 2 shown]
	v_cmp_gt_u32_e32 vcc, 20, v23
	s_barrier
	s_and_saveexec_b64 s[14:15], vcc
	s_cbranch_execz .LBB0_9
; %bb.8:
	v_lshlrev_b32_e32 v26, 6, v23
	v_add3_u32 v25, v25, v26, v24
	ds_write_b128 v25, v[1:4]
	ds_write_b128 v25, v[5:8] offset:16
	ds_write_b128 v25, v[9:12] offset:32
	;; [unrolled: 1-line block ×4, first 2 shown]
.LBB0_9:
	s_or_b64 exec, exec, s[14:15]
	s_load_dwordx2 s[14:15], s[4:5], 0x0
	s_waitcnt lgkmcnt(0)
	s_barrier
	s_and_saveexec_b64 s[16:17], vcc
	s_cbranch_execz .LBB0_11
; %bb.10:
	ds_read_b128 v[1:4], v22
	ds_read_b128 v[5:8], v21 offset:320
	ds_read_b128 v[9:12], v21 offset:640
	;; [unrolled: 1-line block ×4, first 2 shown]
.LBB0_11:
	s_or_b64 exec, exec, s[16:17]
	s_waitcnt lgkmcnt(0)
	s_barrier
	s_and_saveexec_b64 s[16:17], vcc
	s_cbranch_execz .LBB0_13
; %bb.12:
	s_movk_i32 s3, 0xcd
	v_mul_lo_u16_sdwa v25, v23, s3 dst_sel:DWORD dst_unused:UNUSED_PAD src0_sel:BYTE_0 src1_sel:DWORD
	v_lshrrev_b16_e32 v49, 10, v25
	v_mul_lo_u16_e32 v25, 5, v49
	v_sub_u16_e32 v25, v23, v25
	v_and_b32_e32 v57, 0xff, v25
	v_lshlrev_b32_e32 v41, 6, v57
	global_load_dwordx4 v[25:28], v41, s[14:15] offset:16
	global_load_dwordx4 v[29:32], v41, s[14:15]
	global_load_dwordx4 v[33:36], v41, s[14:15] offset:32
	global_load_dwordx4 v[37:40], v41, s[14:15] offset:48
	v_mul_lo_u16_e32 v59, 25, v49
	s_mov_b32 s22, 0x134454ff
	s_mov_b32 s23, 0xbfee6f0e
	;; [unrolled: 1-line block ×10, first 2 shown]
	v_mov_b32_e32 v58, 4
	s_waitcnt vmcnt(3)
	v_mul_f64 v[41:42], v[9:10], v[27:28]
	s_waitcnt vmcnt(2)
	v_mul_f64 v[43:44], v[5:6], v[31:32]
	;; [unrolled: 2-line block ×4, first 2 shown]
	v_mul_f64 v[31:32], v[7:8], v[31:32]
	v_mul_f64 v[39:40], v[19:20], v[39:40]
	;; [unrolled: 1-line block ×4, first 2 shown]
	v_fma_f64 v[11:12], v[11:12], v[25:26], v[41:42]
	v_fma_f64 v[7:8], v[7:8], v[29:30], v[43:44]
	;; [unrolled: 1-line block ×4, first 2 shown]
	v_fma_f64 v[5:6], v[5:6], v[29:30], -v[31:32]
	v_fma_f64 v[17:18], v[17:18], v[37:38], -v[39:40]
	v_fma_f64 v[9:10], v[9:10], v[25:26], -v[27:28]
	v_fma_f64 v[13:14], v[13:14], v[33:34], -v[35:36]
	v_add_f64 v[25:26], v[11:12], -v[7:8]
	v_add_f64 v[35:36], v[7:8], -v[11:12]
	;; [unrolled: 1-line block ×3, first 2 shown]
	v_add_f64 v[31:32], v[7:8], v[19:20]
	v_add_f64 v[37:38], v[19:20], -v[15:16]
	v_add_f64 v[39:40], v[11:12], v[15:16]
	v_add_f64 v[49:50], v[5:6], v[17:18]
	;; [unrolled: 1-line block ×4, first 2 shown]
	v_add_f64 v[29:30], v[5:6], -v[17:18]
	v_add_f64 v[43:44], v[9:10], -v[5:6]
	v_add_f64 v[51:52], v[5:6], -v[9:10]
	v_add_f64 v[5:6], v[1:2], v[5:6]
	v_add_f64 v[33:34], v[9:10], -v[13:14]
	v_add_f64 v[45:46], v[13:14], -v[17:18]
	;; [unrolled: 1-line block ×3, first 2 shown]
	v_add_f64 v[25:26], v[25:26], v[27:28]
	v_fma_f64 v[27:28], v[31:32], -0.5, v[3:4]
	v_add_f64 v[31:32], v[35:36], v[37:38]
	v_fma_f64 v[3:4], v[39:40], -0.5, v[3:4]
	v_fma_f64 v[37:38], v[49:50], -0.5, v[1:2]
	;; [unrolled: 1-line block ×3, first 2 shown]
	v_add_f64 v[47:48], v[11:12], -v[15:16]
	v_add_f64 v[11:12], v[41:42], v[11:12]
	v_add_f64 v[5:6], v[5:6], v[9:10]
	v_add_f64 v[53:54], v[17:18], -v[13:14]
	v_add_f64 v[35:36], v[43:44], v[45:46]
	v_fma_f64 v[9:10], v[33:34], s[22:23], v[27:28]
	v_fma_f64 v[27:28], v[33:34], s[26:27], v[27:28]
	;; [unrolled: 1-line block ×6, first 2 shown]
	v_add_f64 v[11:12], v[11:12], v[15:16]
	v_fma_f64 v[15:16], v[47:48], s[26:27], v[37:38]
	v_fma_f64 v[37:38], v[47:48], s[22:23], v[37:38]
	v_add_f64 v[5:6], v[5:6], v[13:14]
	v_add_f64 v[39:40], v[51:52], v[53:54]
	v_fma_f64 v[9:10], v[29:30], s[20:21], v[9:10]
	v_fma_f64 v[13:14], v[29:30], s[24:25], v[27:28]
	;; [unrolled: 1-line block ×8, first 2 shown]
	v_add_f64 v[3:4], v[11:12], v[19:20]
	v_add_f64 v[1:2], v[5:6], v[17:18]
	v_fma_f64 v[7:8], v[25:26], s[18:19], v[9:10]
	v_fma_f64 v[19:20], v[31:32], s[18:19], v[29:30]
	;; [unrolled: 1-line block ×8, first 2 shown]
	v_lshlrev_b32_sdwa v25, v58, v59 dst_sel:DWORD dst_unused:UNUSED_PAD src0_sel:DWORD src1_sel:BYTE_0
	v_lshl_add_u32 v26, v57, 4, 0
	v_add3_u32 v24, v26, v25, v24
	ds_write_b128 v24, v[1:4]
	ds_write_b128 v24, v[17:20] offset:80
	ds_write_b128 v24, v[9:12] offset:160
	;; [unrolled: 1-line block ×4, first 2 shown]
.LBB0_13:
	s_or_b64 exec, exec, s[16:17]
	v_mul_u32_u24_e32 v1, 3, v23
	v_lshlrev_b32_e32 v13, 4, v1
	s_waitcnt lgkmcnt(0)
	s_barrier
	global_load_dwordx4 v[1:4], v13, s[14:15] offset:320
	global_load_dwordx4 v[5:8], v13, s[14:15] offset:336
	;; [unrolled: 1-line block ×3, first 2 shown]
	ds_read_b128 v[13:16], v21 offset:400
	ds_read_b128 v[17:20], v21 offset:800
	;; [unrolled: 1-line block ×3, first 2 shown]
	ds_read_b128 v[27:30], v22
	s_waitcnt vmcnt(0) lgkmcnt(0)
	s_barrier
	v_mul_f64 v[31:32], v[15:16], v[3:4]
	v_mul_f64 v[3:4], v[13:14], v[3:4]
	;; [unrolled: 1-line block ×6, first 2 shown]
	v_fma_f64 v[13:14], v[13:14], v[1:2], -v[31:32]
	v_fma_f64 v[1:2], v[15:16], v[1:2], v[3:4]
	v_fma_f64 v[3:4], v[17:18], v[5:6], -v[33:34]
	v_fma_f64 v[5:6], v[19:20], v[5:6], v[7:8]
	;; [unrolled: 2-line block ×3, first 2 shown]
	v_add_f64 v[11:12], v[27:28], -v[3:4]
	v_add_f64 v[15:16], v[29:30], -v[5:6]
	;; [unrolled: 1-line block ×4, first 2 shown]
	v_fma_f64 v[17:18], v[27:28], 2.0, -v[11:12]
	v_fma_f64 v[19:20], v[29:30], 2.0, -v[15:16]
	;; [unrolled: 1-line block ×4, first 2 shown]
	v_add_f64 v[2:3], v[11:12], -v[6:7]
	v_add_f64 v[4:5], v[15:16], v[4:5]
	v_and_b32_e32 v1, 3, v0
	v_or_b32_e32 v22, s28, v1
	v_cmp_gt_u32_e32 vcc, s0, v22
	s_or_b64 s[12:13], s[12:13], vcc
	v_add_f64 v[6:7], v[17:18], -v[8:9]
	v_add_f64 v[8:9], v[19:20], -v[13:14]
	v_fma_f64 v[10:11], v[11:12], 2.0, -v[2:3]
	v_fma_f64 v[12:13], v[15:16], 2.0, -v[4:5]
	;; [unrolled: 1-line block ×4, first 2 shown]
	ds_write_b128 v21, v[2:5] offset:1200
	ds_write_b128 v21, v[10:13] offset:400
	;; [unrolled: 1-line block ×3, first 2 shown]
	ds_write_b128 v21, v[14:17]
	s_waitcnt lgkmcnt(0)
	s_barrier
	s_and_saveexec_b64 s[14:15], s[12:13]
	s_cbranch_execz .LBB0_15
; %bb.14:
	v_mad_u64_u32 v[4:5], s[14:15], s8, v1, 0
	s_load_dwordx2 s[4:5], s[4:5], 0x60
	s_mul_i32 s0, s9, s28
	s_mul_hi_u32 s3, s8, s28
	s_add_i32 s13, s3, s0
	s_mul_i32 s12, s8, s28
	s_mul_i32 s0, s7, s1
	s_mul_hi_u32 s3, s6, s1
	v_mov_b32_e32 v2, v5
	v_mad_u64_u32 v[2:3], s[8:9], s9, v1, v[2:3]
	s_add_i32 s7, s3, s0
	s_mul_i32 s6, s6, s1
	s_lshl_b64 s[0:1], s[12:13], 4
	s_mul_i32 s10, s29, s10
	s_mov_b32 s11, 0
	s_waitcnt lgkmcnt(0)
	s_add_u32 s3, s4, s0
	s_addc_u32 s4, s5, s1
	s_lshl_b64 s[0:1], s[10:11], 4
	v_lshrrev_b32_e32 v0, 2, v0
	s_add_u32 s3, s3, s0
	v_mov_b32_e32 v5, v2
	v_mul_lo_u32 v8, v0, s2
	s_addc_u32 s4, s4, s1
	s_lshl_b64 s[0:1], s[6:7], 4
	v_mul_u32_u24_e32 v1, 0x640, v1
	v_lshlrev_b32_e32 v0, 4, v0
	s_add_u32 s0, s3, s0
	v_lshlrev_b64 v[4:5], 4, v[4:5]
	v_add3_u32 v12, 0, v1, v0
	s_addc_u32 s1, s4, s1
	v_mov_b32_e32 v9, 0
	ds_read_b128 v[0:3], v12
	v_mov_b32_e32 v6, s1
	v_add_co_u32_e32 v13, vcc, s0, v4
	v_addc_co_u32_e32 v14, vcc, v6, v5, vcc
	v_lshlrev_b64 v[4:5], 4, v[8:9]
	s_mul_i32 s0, s2, 25
	v_add_co_u32_e32 v10, vcc, v13, v4
	v_addc_co_u32_e32 v11, vcc, v14, v5, vcc
	ds_read_b128 v[4:7], v12 offset:400
	v_add_u32_e32 v8, s0, v8
	s_waitcnt lgkmcnt(1)
	global_store_dwordx4 v[10:11], v[0:3], off
	s_nop 0
	v_lshlrev_b64 v[0:1], 4, v[8:9]
	v_add_u32_e32 v8, s0, v8
	v_add_co_u32_e32 v0, vcc, v13, v0
	v_addc_co_u32_e32 v1, vcc, v14, v1, vcc
	s_waitcnt lgkmcnt(0)
	global_store_dwordx4 v[0:1], v[4:7], off
	ds_read_b128 v[0:3], v12 offset:800
	v_lshlrev_b64 v[4:5], 4, v[8:9]
	v_add_u32_e32 v8, s0, v8
	v_add_co_u32_e32 v10, vcc, v13, v4
	v_addc_co_u32_e32 v11, vcc, v14, v5, vcc
	ds_read_b128 v[4:7], v12 offset:1200
	s_waitcnt lgkmcnt(1)
	global_store_dwordx4 v[10:11], v[0:3], off
	s_nop 0
	v_lshlrev_b64 v[0:1], 4, v[8:9]
	v_add_co_u32_e32 v0, vcc, v13, v0
	v_addc_co_u32_e32 v1, vcc, v14, v1, vcc
	s_waitcnt lgkmcnt(0)
	global_store_dwordx4 v[0:1], v[4:7], off
.LBB0_15:
	s_endpgm
	.section	.rodata,"a",@progbits
	.p2align	6, 0x0
	.amdhsa_kernel fft_rtc_fwd_len100_factors_5_5_4_wgs_100_tpt_25_dp_op_CI_CI_sbrc_z_xy_unaligned
		.amdhsa_group_segment_fixed_size 0
		.amdhsa_private_segment_fixed_size 0
		.amdhsa_kernarg_size 104
		.amdhsa_user_sgpr_count 6
		.amdhsa_user_sgpr_private_segment_buffer 1
		.amdhsa_user_sgpr_dispatch_ptr 0
		.amdhsa_user_sgpr_queue_ptr 0
		.amdhsa_user_sgpr_kernarg_segment_ptr 1
		.amdhsa_user_sgpr_dispatch_id 0
		.amdhsa_user_sgpr_flat_scratch_init 0
		.amdhsa_user_sgpr_private_segment_size 0
		.amdhsa_uses_dynamic_stack 0
		.amdhsa_system_sgpr_private_segment_wavefront_offset 0
		.amdhsa_system_sgpr_workgroup_id_x 1
		.amdhsa_system_sgpr_workgroup_id_y 0
		.amdhsa_system_sgpr_workgroup_id_z 0
		.amdhsa_system_sgpr_workgroup_info 0
		.amdhsa_system_vgpr_workitem_id 0
		.amdhsa_next_free_vgpr 60
		.amdhsa_next_free_sgpr 30
		.amdhsa_reserve_vcc 1
		.amdhsa_reserve_flat_scratch 0
		.amdhsa_float_round_mode_32 0
		.amdhsa_float_round_mode_16_64 0
		.amdhsa_float_denorm_mode_32 3
		.amdhsa_float_denorm_mode_16_64 3
		.amdhsa_dx10_clamp 1
		.amdhsa_ieee_mode 1
		.amdhsa_fp16_overflow 0
		.amdhsa_exception_fp_ieee_invalid_op 0
		.amdhsa_exception_fp_denorm_src 0
		.amdhsa_exception_fp_ieee_div_zero 0
		.amdhsa_exception_fp_ieee_overflow 0
		.amdhsa_exception_fp_ieee_underflow 0
		.amdhsa_exception_fp_ieee_inexact 0
		.amdhsa_exception_int_div_zero 0
	.end_amdhsa_kernel
	.text
.Lfunc_end0:
	.size	fft_rtc_fwd_len100_factors_5_5_4_wgs_100_tpt_25_dp_op_CI_CI_sbrc_z_xy_unaligned, .Lfunc_end0-fft_rtc_fwd_len100_factors_5_5_4_wgs_100_tpt_25_dp_op_CI_CI_sbrc_z_xy_unaligned
                                        ; -- End function
	.section	.AMDGPU.csdata,"",@progbits
; Kernel info:
; codeLenInByte = 3192
; NumSgprs: 34
; NumVgprs: 60
; ScratchSize: 0
; MemoryBound: 0
; FloatMode: 240
; IeeeMode: 1
; LDSByteSize: 0 bytes/workgroup (compile time only)
; SGPRBlocks: 4
; VGPRBlocks: 14
; NumSGPRsForWavesPerEU: 34
; NumVGPRsForWavesPerEU: 60
; Occupancy: 4
; WaveLimiterHint : 1
; COMPUTE_PGM_RSRC2:SCRATCH_EN: 0
; COMPUTE_PGM_RSRC2:USER_SGPR: 6
; COMPUTE_PGM_RSRC2:TRAP_HANDLER: 0
; COMPUTE_PGM_RSRC2:TGID_X_EN: 1
; COMPUTE_PGM_RSRC2:TGID_Y_EN: 0
; COMPUTE_PGM_RSRC2:TGID_Z_EN: 0
; COMPUTE_PGM_RSRC2:TIDIG_COMP_CNT: 0
	.type	__hip_cuid_bf4985deb4fff74a,@object ; @__hip_cuid_bf4985deb4fff74a
	.section	.bss,"aw",@nobits
	.globl	__hip_cuid_bf4985deb4fff74a
__hip_cuid_bf4985deb4fff74a:
	.byte	0                               ; 0x0
	.size	__hip_cuid_bf4985deb4fff74a, 1

	.ident	"AMD clang version 19.0.0git (https://github.com/RadeonOpenCompute/llvm-project roc-6.4.0 25133 c7fe45cf4b819c5991fe208aaa96edf142730f1d)"
	.section	".note.GNU-stack","",@progbits
	.addrsig
	.addrsig_sym __hip_cuid_bf4985deb4fff74a
	.amdgpu_metadata
---
amdhsa.kernels:
  - .args:
      - .actual_access:  read_only
        .address_space:  global
        .offset:         0
        .size:           8
        .value_kind:     global_buffer
      - .offset:         8
        .size:           8
        .value_kind:     by_value
      - .actual_access:  read_only
        .address_space:  global
        .offset:         16
        .size:           8
        .value_kind:     global_buffer
      - .actual_access:  read_only
        .address_space:  global
        .offset:         24
        .size:           8
        .value_kind:     global_buffer
      - .actual_access:  read_only
        .address_space:  global
        .offset:         32
        .size:           8
        .value_kind:     global_buffer
      - .offset:         40
        .size:           8
        .value_kind:     by_value
      - .actual_access:  read_only
        .address_space:  global
        .offset:         48
        .size:           8
        .value_kind:     global_buffer
      - .actual_access:  read_only
        .address_space:  global
        .offset:         56
        .size:           8
        .value_kind:     global_buffer
      - .offset:         64
        .size:           4
        .value_kind:     by_value
      - .actual_access:  read_only
        .address_space:  global
        .offset:         72
        .size:           8
        .value_kind:     global_buffer
      - .actual_access:  read_only
        .address_space:  global
        .offset:         80
        .size:           8
        .value_kind:     global_buffer
      - .actual_access:  read_only
        .address_space:  global
        .offset:         88
        .size:           8
        .value_kind:     global_buffer
      - .actual_access:  write_only
        .address_space:  global
        .offset:         96
        .size:           8
        .value_kind:     global_buffer
    .group_segment_fixed_size: 0
    .kernarg_segment_align: 8
    .kernarg_segment_size: 104
    .language:       OpenCL C
    .language_version:
      - 2
      - 0
    .max_flat_workgroup_size: 100
    .name:           fft_rtc_fwd_len100_factors_5_5_4_wgs_100_tpt_25_dp_op_CI_CI_sbrc_z_xy_unaligned
    .private_segment_fixed_size: 0
    .sgpr_count:     34
    .sgpr_spill_count: 0
    .symbol:         fft_rtc_fwd_len100_factors_5_5_4_wgs_100_tpt_25_dp_op_CI_CI_sbrc_z_xy_unaligned.kd
    .uniform_work_group_size: 1
    .uses_dynamic_stack: false
    .vgpr_count:     60
    .vgpr_spill_count: 0
    .wavefront_size: 64
amdhsa.target:   amdgcn-amd-amdhsa--gfx906
amdhsa.version:
  - 1
  - 2
...

	.end_amdgpu_metadata
